;; amdgpu-corpus repo=ROCm/rocFFT kind=compiled arch=gfx1201 opt=O3
	.text
	.amdgcn_target "amdgcn-amd-amdhsa--gfx1201"
	.amdhsa_code_object_version 6
	.protected	fft_rtc_fwd_len297_factors_9_3_11_wgs_231_tpt_33_halfLds_dp_op_CI_CI_sbrr_dirReg ; -- Begin function fft_rtc_fwd_len297_factors_9_3_11_wgs_231_tpt_33_halfLds_dp_op_CI_CI_sbrr_dirReg
	.globl	fft_rtc_fwd_len297_factors_9_3_11_wgs_231_tpt_33_halfLds_dp_op_CI_CI_sbrr_dirReg
	.p2align	8
	.type	fft_rtc_fwd_len297_factors_9_3_11_wgs_231_tpt_33_halfLds_dp_op_CI_CI_sbrr_dirReg,@function
fft_rtc_fwd_len297_factors_9_3_11_wgs_231_tpt_33_halfLds_dp_op_CI_CI_sbrr_dirReg: ; @fft_rtc_fwd_len297_factors_9_3_11_wgs_231_tpt_33_halfLds_dp_op_CI_CI_sbrr_dirReg
; %bb.0:
	s_clause 0x1
	s_load_b128 s[12:15], s[0:1], 0x18
	s_load_b128 s[8:11], s[0:1], 0x0
	v_mul_u32_u24_e32 v1, 0x7c2, v0
	v_mov_b32_e32 v4, 0
	s_load_b128 s[4:7], s[0:1], 0x58
	s_wait_kmcnt 0x0
	s_load_b64 s[18:19], s[12:13], 0x0
	s_load_b64 s[16:17], s[14:15], 0x0
	v_lshrrev_b32_e32 v2, 16, v1
	v_mov_b32_e32 v1, 0
	v_cmp_lt_u64_e64 s2, s[10:11], 2
	s_delay_alu instid0(VALU_DEP_3) | instskip(NEXT) | instid1(VALU_DEP_3)
	v_mad_co_u64_u32 v[36:37], null, ttmp9, 7, v[2:3]
	v_mov_b32_e32 v37, v1
	v_mov_b32_e32 v5, 0
	s_delay_alu instid0(VALU_DEP_4) | instskip(NEXT) | instid1(VALU_DEP_2)
	s_and_b32 vcc_lo, exec_lo, s2
	v_dual_mov_b32 v83, v37 :: v_dual_mov_b32 v82, v36
	s_delay_alu instid0(VALU_DEP_2)
	v_dual_mov_b32 v81, v5 :: v_dual_mov_b32 v80, v4
	s_cbranch_vccnz .LBB0_8
; %bb.1:
	s_load_b64 s[2:3], s[0:1], 0x10
	v_mov_b32_e32 v4, 0
	v_dual_mov_b32 v5, 0 :: v_dual_mov_b32 v6, v36
	v_mov_b32_e32 v7, v37
	s_add_nc_u64 s[20:21], s[14:15], 8
	s_add_nc_u64 s[22:23], s[12:13], 8
	s_delay_alu instid0(VALU_DEP_2)
	v_dual_mov_b32 v81, v5 :: v_dual_mov_b32 v80, v4
	s_mov_b64 s[24:25], 1
	s_wait_kmcnt 0x0
	s_add_nc_u64 s[26:27], s[2:3], 8
	s_mov_b32 s3, 0
.LBB0_2:                                ; =>This Inner Loop Header: Depth=1
	s_load_b64 s[28:29], s[26:27], 0x0
                                        ; implicit-def: $vgpr82_vgpr83
	s_mov_b32 s2, exec_lo
	s_wait_kmcnt 0x0
	v_or_b32_e32 v2, s29, v7
	s_delay_alu instid0(VALU_DEP_1)
	v_cmpx_ne_u64_e32 0, v[1:2]
	s_wait_alu 0xfffe
	s_xor_b32 s30, exec_lo, s2
	s_cbranch_execz .LBB0_4
; %bb.3:                                ;   in Loop: Header=BB0_2 Depth=1
	s_cvt_f32_u32 s2, s28
	s_cvt_f32_u32 s31, s29
	s_sub_nc_u64 s[36:37], 0, s[28:29]
	s_wait_alu 0xfffe
	s_delay_alu instid0(SALU_CYCLE_1) | instskip(SKIP_1) | instid1(SALU_CYCLE_2)
	s_fmamk_f32 s2, s31, 0x4f800000, s2
	s_wait_alu 0xfffe
	v_s_rcp_f32 s2, s2
	s_delay_alu instid0(TRANS32_DEP_1) | instskip(SKIP_1) | instid1(SALU_CYCLE_2)
	s_mul_f32 s2, s2, 0x5f7ffffc
	s_wait_alu 0xfffe
	s_mul_f32 s31, s2, 0x2f800000
	s_wait_alu 0xfffe
	s_delay_alu instid0(SALU_CYCLE_2) | instskip(SKIP_1) | instid1(SALU_CYCLE_2)
	s_trunc_f32 s31, s31
	s_wait_alu 0xfffe
	s_fmamk_f32 s2, s31, 0xcf800000, s2
	s_cvt_u32_f32 s35, s31
	s_wait_alu 0xfffe
	s_delay_alu instid0(SALU_CYCLE_1) | instskip(SKIP_1) | instid1(SALU_CYCLE_2)
	s_cvt_u32_f32 s34, s2
	s_wait_alu 0xfffe
	s_mul_u64 s[38:39], s[36:37], s[34:35]
	s_wait_alu 0xfffe
	s_mul_hi_u32 s41, s34, s39
	s_mul_i32 s40, s34, s39
	s_mul_hi_u32 s2, s34, s38
	s_mul_i32 s33, s35, s38
	s_wait_alu 0xfffe
	s_add_nc_u64 s[40:41], s[2:3], s[40:41]
	s_mul_hi_u32 s31, s35, s38
	s_mul_hi_u32 s42, s35, s39
	s_add_co_u32 s2, s40, s33
	s_wait_alu 0xfffe
	s_add_co_ci_u32 s2, s41, s31
	s_mul_i32 s38, s35, s39
	s_add_co_ci_u32 s39, s42, 0
	s_wait_alu 0xfffe
	s_add_nc_u64 s[38:39], s[2:3], s[38:39]
	s_wait_alu 0xfffe
	v_add_co_u32 v2, s2, s34, s38
	s_delay_alu instid0(VALU_DEP_1) | instskip(SKIP_1) | instid1(VALU_DEP_1)
	s_cmp_lg_u32 s2, 0
	s_add_co_ci_u32 s35, s35, s39
	v_readfirstlane_b32 s34, v2
	s_wait_alu 0xfffe
	s_delay_alu instid0(VALU_DEP_1)
	s_mul_u64 s[36:37], s[36:37], s[34:35]
	s_wait_alu 0xfffe
	s_mul_hi_u32 s39, s34, s37
	s_mul_i32 s38, s34, s37
	s_mul_hi_u32 s2, s34, s36
	s_mul_i32 s33, s35, s36
	s_wait_alu 0xfffe
	s_add_nc_u64 s[38:39], s[2:3], s[38:39]
	s_mul_hi_u32 s31, s35, s36
	s_mul_hi_u32 s34, s35, s37
	s_wait_alu 0xfffe
	s_add_co_u32 s2, s38, s33
	s_add_co_ci_u32 s2, s39, s31
	s_mul_i32 s36, s35, s37
	s_add_co_ci_u32 s37, s34, 0
	s_wait_alu 0xfffe
	s_add_nc_u64 s[36:37], s[2:3], s[36:37]
	s_wait_alu 0xfffe
	v_add_co_u32 v8, s2, v2, s36
	s_delay_alu instid0(VALU_DEP_1) | instskip(SKIP_1) | instid1(VALU_DEP_1)
	s_cmp_lg_u32 s2, 0
	s_add_co_ci_u32 s2, s35, s37
	v_mul_hi_u32 v12, v6, v8
	s_wait_alu 0xfffe
	v_mad_co_u64_u32 v[2:3], null, v6, s2, 0
	v_mad_co_u64_u32 v[8:9], null, v7, v8, 0
	;; [unrolled: 1-line block ×3, first 2 shown]
	s_delay_alu instid0(VALU_DEP_3) | instskip(SKIP_1) | instid1(VALU_DEP_4)
	v_add_co_u32 v2, vcc_lo, v12, v2
	s_wait_alu 0xfffd
	v_add_co_ci_u32_e32 v3, vcc_lo, 0, v3, vcc_lo
	s_delay_alu instid0(VALU_DEP_2) | instskip(SKIP_1) | instid1(VALU_DEP_2)
	v_add_co_u32 v2, vcc_lo, v2, v8
	s_wait_alu 0xfffd
	v_add_co_ci_u32_e32 v2, vcc_lo, v3, v9, vcc_lo
	s_wait_alu 0xfffd
	v_add_co_ci_u32_e32 v3, vcc_lo, 0, v11, vcc_lo
	s_delay_alu instid0(VALU_DEP_2) | instskip(SKIP_1) | instid1(VALU_DEP_2)
	v_add_co_u32 v8, vcc_lo, v2, v10
	s_wait_alu 0xfffd
	v_add_co_ci_u32_e32 v9, vcc_lo, 0, v3, vcc_lo
	s_delay_alu instid0(VALU_DEP_2) | instskip(SKIP_1) | instid1(VALU_DEP_3)
	v_mul_lo_u32 v10, s29, v8
	v_mad_co_u64_u32 v[2:3], null, s28, v8, 0
	v_mul_lo_u32 v11, s28, v9
	s_delay_alu instid0(VALU_DEP_2) | instskip(NEXT) | instid1(VALU_DEP_2)
	v_sub_co_u32 v2, vcc_lo, v6, v2
	v_add3_u32 v3, v3, v11, v10
	s_delay_alu instid0(VALU_DEP_1) | instskip(SKIP_1) | instid1(VALU_DEP_1)
	v_sub_nc_u32_e32 v10, v7, v3
	s_wait_alu 0xfffd
	v_subrev_co_ci_u32_e64 v10, s2, s29, v10, vcc_lo
	v_add_co_u32 v11, s2, v8, 2
	s_wait_alu 0xf1ff
	v_add_co_ci_u32_e64 v12, s2, 0, v9, s2
	v_sub_co_u32 v13, s2, v2, s28
	v_sub_co_ci_u32_e32 v3, vcc_lo, v7, v3, vcc_lo
	s_wait_alu 0xf1ff
	v_subrev_co_ci_u32_e64 v10, s2, 0, v10, s2
	s_delay_alu instid0(VALU_DEP_3) | instskip(NEXT) | instid1(VALU_DEP_3)
	v_cmp_le_u32_e32 vcc_lo, s28, v13
	v_cmp_eq_u32_e64 s2, s29, v3
	s_wait_alu 0xfffd
	v_cndmask_b32_e64 v13, 0, -1, vcc_lo
	v_cmp_le_u32_e32 vcc_lo, s29, v10
	s_wait_alu 0xfffd
	v_cndmask_b32_e64 v14, 0, -1, vcc_lo
	v_cmp_le_u32_e32 vcc_lo, s28, v2
	;; [unrolled: 3-line block ×3, first 2 shown]
	s_wait_alu 0xfffd
	v_cndmask_b32_e64 v15, 0, -1, vcc_lo
	v_cmp_eq_u32_e32 vcc_lo, s29, v10
	s_wait_alu 0xf1ff
	s_delay_alu instid0(VALU_DEP_2)
	v_cndmask_b32_e64 v2, v15, v2, s2
	s_wait_alu 0xfffd
	v_cndmask_b32_e32 v10, v14, v13, vcc_lo
	v_add_co_u32 v13, vcc_lo, v8, 1
	s_wait_alu 0xfffd
	v_add_co_ci_u32_e32 v14, vcc_lo, 0, v9, vcc_lo
	s_delay_alu instid0(VALU_DEP_3) | instskip(SKIP_1) | instid1(VALU_DEP_2)
	v_cmp_ne_u32_e32 vcc_lo, 0, v10
	s_wait_alu 0xfffd
	v_dual_cndmask_b32 v3, v14, v12 :: v_dual_cndmask_b32 v10, v13, v11
	v_cmp_ne_u32_e32 vcc_lo, 0, v2
	s_wait_alu 0xfffd
	s_delay_alu instid0(VALU_DEP_2)
	v_dual_cndmask_b32 v83, v9, v3 :: v_dual_cndmask_b32 v82, v8, v10
.LBB0_4:                                ;   in Loop: Header=BB0_2 Depth=1
	s_wait_alu 0xfffe
	s_and_not1_saveexec_b32 s2, s30
	s_cbranch_execz .LBB0_6
; %bb.5:                                ;   in Loop: Header=BB0_2 Depth=1
	v_cvt_f32_u32_e32 v2, s28
	s_sub_co_i32 s30, 0, s28
	v_mov_b32_e32 v83, v1
	s_delay_alu instid0(VALU_DEP_2) | instskip(NEXT) | instid1(TRANS32_DEP_1)
	v_rcp_iflag_f32_e32 v2, v2
	v_mul_f32_e32 v2, 0x4f7ffffe, v2
	s_delay_alu instid0(VALU_DEP_1) | instskip(SKIP_1) | instid1(VALU_DEP_1)
	v_cvt_u32_f32_e32 v2, v2
	s_wait_alu 0xfffe
	v_mul_lo_u32 v3, s30, v2
	s_delay_alu instid0(VALU_DEP_1) | instskip(NEXT) | instid1(VALU_DEP_1)
	v_mul_hi_u32 v3, v2, v3
	v_add_nc_u32_e32 v2, v2, v3
	s_delay_alu instid0(VALU_DEP_1) | instskip(NEXT) | instid1(VALU_DEP_1)
	v_mul_hi_u32 v2, v6, v2
	v_mul_lo_u32 v3, v2, s28
	v_add_nc_u32_e32 v8, 1, v2
	s_delay_alu instid0(VALU_DEP_2) | instskip(NEXT) | instid1(VALU_DEP_1)
	v_sub_nc_u32_e32 v3, v6, v3
	v_subrev_nc_u32_e32 v9, s28, v3
	v_cmp_le_u32_e32 vcc_lo, s28, v3
	s_wait_alu 0xfffd
	s_delay_alu instid0(VALU_DEP_2) | instskip(NEXT) | instid1(VALU_DEP_1)
	v_dual_cndmask_b32 v3, v3, v9 :: v_dual_cndmask_b32 v2, v2, v8
	v_cmp_le_u32_e32 vcc_lo, s28, v3
	s_delay_alu instid0(VALU_DEP_2) | instskip(SKIP_1) | instid1(VALU_DEP_1)
	v_add_nc_u32_e32 v8, 1, v2
	s_wait_alu 0xfffd
	v_cndmask_b32_e32 v82, v2, v8, vcc_lo
.LBB0_6:                                ;   in Loop: Header=BB0_2 Depth=1
	s_wait_alu 0xfffe
	s_or_b32 exec_lo, exec_lo, s2
	v_mul_lo_u32 v8, v83, s28
	s_delay_alu instid0(VALU_DEP_2)
	v_mul_lo_u32 v9, v82, s29
	s_load_b64 s[30:31], s[22:23], 0x0
	v_mad_co_u64_u32 v[2:3], null, v82, s28, 0
	s_load_b64 s[28:29], s[20:21], 0x0
	s_add_nc_u64 s[24:25], s[24:25], 1
	s_add_nc_u64 s[20:21], s[20:21], 8
	s_wait_alu 0xfffe
	v_cmp_ge_u64_e64 s2, s[24:25], s[10:11]
	s_add_nc_u64 s[22:23], s[22:23], 8
	s_add_nc_u64 s[26:27], s[26:27], 8
	v_add3_u32 v3, v3, v9, v8
	v_sub_co_u32 v2, vcc_lo, v6, v2
	s_wait_alu 0xfffd
	s_delay_alu instid0(VALU_DEP_2) | instskip(SKIP_2) | instid1(VALU_DEP_1)
	v_sub_co_ci_u32_e32 v3, vcc_lo, v7, v3, vcc_lo
	s_and_b32 vcc_lo, exec_lo, s2
	s_wait_kmcnt 0x0
	v_mul_lo_u32 v6, s30, v3
	v_mul_lo_u32 v7, s31, v2
	v_mad_co_u64_u32 v[4:5], null, s30, v2, v[4:5]
	v_mul_lo_u32 v3, s28, v3
	v_mul_lo_u32 v8, s29, v2
	v_mad_co_u64_u32 v[80:81], null, s28, v2, v[80:81]
	s_delay_alu instid0(VALU_DEP_4) | instskip(NEXT) | instid1(VALU_DEP_2)
	v_add3_u32 v5, v7, v5, v6
	v_add3_u32 v81, v8, v81, v3
	s_wait_alu 0xfffe
	s_cbranch_vccnz .LBB0_8
; %bb.7:                                ;   in Loop: Header=BB0_2 Depth=1
	v_dual_mov_b32 v6, v82 :: v_dual_mov_b32 v7, v83
	s_branch .LBB0_2
.LBB0_8:
	s_load_b64 s[0:1], s[0:1], 0x28
	v_mul_hi_u32 v1, 0x7c1f07d, v0
	s_lshl_b64 s[10:11], s[10:11], 3
                                        ; implicit-def: $vgpr94
                                        ; implicit-def: $vgpr37
                                        ; implicit-def: $vgpr38
	s_wait_kmcnt 0x0
	v_cmp_gt_u64_e32 vcc_lo, s[0:1], v[82:83]
	v_cmp_le_u64_e64 s0, s[0:1], v[82:83]
	s_delay_alu instid0(VALU_DEP_1)
	s_and_saveexec_b32 s1, s0
	s_wait_alu 0xfffe
	s_xor_b32 s0, exec_lo, s1
; %bb.9:
	v_mul_u32_u24_e32 v1, 33, v1
                                        ; implicit-def: $vgpr4_vgpr5
	s_delay_alu instid0(VALU_DEP_1) | instskip(NEXT) | instid1(VALU_DEP_1)
	v_sub_nc_u32_e32 v94, v0, v1
                                        ; implicit-def: $vgpr1
                                        ; implicit-def: $vgpr0
	v_add_nc_u32_e32 v37, 33, v94
	v_add_nc_u32_e32 v38, 0x42, v94
; %bb.10:
	s_wait_alu 0xfffe
	s_or_saveexec_b32 s1, s0
	s_add_nc_u64 s[2:3], s[14:15], s[10:11]
                                        ; implicit-def: $vgpr34_vgpr35
                                        ; implicit-def: $vgpr30_vgpr31
                                        ; implicit-def: $vgpr26_vgpr27
                                        ; implicit-def: $vgpr6_vgpr7
                                        ; implicit-def: $vgpr10_vgpr11
                                        ; implicit-def: $vgpr14_vgpr15
                                        ; implicit-def: $vgpr18_vgpr19
                                        ; implicit-def: $vgpr22_vgpr23
                                        ; implicit-def: $vgpr2_vgpr3
	s_wait_alu 0xfffe
	s_xor_b32 exec_lo, exec_lo, s1
	s_cbranch_execz .LBB0_12
; %bb.11:
	v_mul_u32_u24_e32 v1, 33, v1
	s_add_nc_u64 s[10:11], s[12:13], s[10:11]
	v_lshlrev_b64_e32 v[4:5], 4, v[4:5]
	s_load_b64 s[10:11], s[10:11], 0x0
	s_delay_alu instid0(VALU_DEP_2) | instskip(NEXT) | instid1(VALU_DEP_1)
	v_sub_nc_u32_e32 v94, v0, v1
	v_add_nc_u32_e32 v17, 0x84, v94
	v_mad_co_u64_u32 v[0:1], null, s18, v94, 0
	v_add_nc_u32_e32 v35, 0x108, v94
	v_add_nc_u32_e32 v34, 0xe7, v94
	s_delay_alu instid0(VALU_DEP_4) | instskip(SKIP_1) | instid1(VALU_DEP_4)
	v_mad_co_u64_u32 v[24:25], null, s18, v17, 0
	v_add_nc_u32_e32 v37, 33, v94
	v_mad_co_u64_u32 v[30:31], null, s18, v35, 0
	s_delay_alu instid0(VALU_DEP_4) | instskip(NEXT) | instid1(VALU_DEP_3)
	v_mad_co_u64_u32 v[28:29], null, s18, v34, 0
	v_mad_co_u64_u32 v[2:3], null, s18, v37, 0
	v_add_nc_u32_e32 v38, 0x42, v94
	s_wait_kmcnt 0x0
	v_mul_lo_u32 v14, s11, v82
	v_mul_lo_u32 v15, s10, v83
	v_mad_co_u64_u32 v[10:11], null, s10, v82, 0
	v_mad_co_u64_u32 v[12:13], null, s19, v94, v[1:2]
	v_mov_b32_e32 v1, v3
	v_mad_co_u64_u32 v[6:7], null, s18, v38, 0
	v_add_nc_u32_e32 v16, 0x63, v94
	v_add3_u32 v11, v11, v15, v14
	s_delay_alu instid0(VALU_DEP_4) | instskip(SKIP_3) | instid1(VALU_DEP_3)
	v_mad_co_u64_u32 v[13:14], null, s19, v37, v[1:2]
	v_mov_b32_e32 v1, v12
	v_mov_b32_e32 v3, v7
	v_mad_co_u64_u32 v[8:9], null, s18, v16, 0
	v_lshlrev_b64_e32 v[0:1], 4, v[0:1]
	s_delay_alu instid0(VALU_DEP_3) | instskip(SKIP_4) | instid1(VALU_DEP_4)
	v_mad_co_u64_u32 v[14:15], null, s19, v38, v[3:4]
	v_mov_b32_e32 v3, v13
	v_add_nc_u32_e32 v13, 0xc6, v94
	v_mov_b32_e32 v7, v9
	v_lshlrev_b64_e32 v[9:10], 4, v[10:11]
	v_lshlrev_b64_e32 v[2:3], 4, v[2:3]
	s_delay_alu instid0(VALU_DEP_4) | instskip(NEXT) | instid1(VALU_DEP_4)
	v_mad_co_u64_u32 v[26:27], null, s18, v13, 0
	v_mad_co_u64_u32 v[11:12], null, s19, v16, v[7:8]
	v_add_nc_u32_e32 v12, 0xa5, v94
	v_add_co_u32 v9, s0, s4, v9
	s_wait_alu 0xf1ff
	v_add_co_ci_u32_e64 v10, s0, s5, v10, s0
	v_mov_b32_e32 v7, v14
	s_delay_alu instid0(VALU_DEP_3) | instskip(SKIP_1) | instid1(VALU_DEP_3)
	v_add_co_u32 v32, s0, v9, v4
	s_wait_alu 0xf1ff
	v_add_co_ci_u32_e64 v33, s0, v10, v5, s0
	s_delay_alu instid0(VALU_DEP_3) | instskip(NEXT) | instid1(VALU_DEP_3)
	v_lshlrev_b64_e32 v[6:7], 4, v[6:7]
	v_add_co_u32 v0, s0, v32, v0
	s_wait_alu 0xf1ff
	s_delay_alu instid0(VALU_DEP_3)
	v_add_co_ci_u32_e64 v1, s0, v33, v1, s0
	v_add_co_u32 v4, s0, v32, v2
	s_wait_alu 0xf1ff
	v_add_co_ci_u32_e64 v5, s0, v33, v3, s0
	v_mov_b32_e32 v9, v11
	s_clause 0x1
	global_load_b128 v[0:3], v[0:1], off
	global_load_b128 v[20:23], v[4:5], off
	v_add_co_u32 v4, s0, v32, v6
	s_wait_alu 0xf1ff
	v_add_co_ci_u32_e64 v5, s0, v33, v7, s0
	v_lshlrev_b64_e32 v[7:8], 4, v[8:9]
	v_mov_b32_e32 v6, v25
	s_delay_alu instid0(VALU_DEP_1) | instskip(SKIP_4) | instid1(VALU_DEP_4)
	v_mad_co_u64_u32 v[9:10], null, s19, v17, v[6:7]
	v_mad_co_u64_u32 v[10:11], null, s18, v12, 0
	v_add_co_u32 v6, s0, v32, v7
	s_wait_alu 0xf1ff
	v_add_co_ci_u32_e64 v7, s0, v33, v8, s0
	v_mov_b32_e32 v25, v9
	s_delay_alu instid0(VALU_DEP_4) | instskip(NEXT) | instid1(VALU_DEP_1)
	v_dual_mov_b32 v9, v27 :: v_dual_mov_b32 v8, v11
	v_mad_co_u64_u32 v[11:12], null, s19, v12, v[8:9]
	v_mad_co_u64_u32 v[8:9], null, s19, v13, v[9:10]
	s_clause 0x1
	global_load_b128 v[16:19], v[4:5], off
	global_load_b128 v[12:15], v[6:7], off
	v_lshlrev_b64_e32 v[5:6], 4, v[24:25]
	v_dual_mov_b32 v4, v29 :: v_dual_mov_b32 v27, v8
	s_delay_alu instid0(VALU_DEP_1)
	v_mad_co_u64_u32 v[7:8], null, s19, v34, v[4:5]
	v_mov_b32_e32 v4, v31
	v_add_co_u32 v5, s0, v32, v5
	v_lshlrev_b64_e32 v[8:9], 4, v[10:11]
	v_lshlrev_b64_e32 v[24:25], 4, v[26:27]
	s_wait_alu 0xf1ff
	v_add_co_ci_u32_e64 v6, s0, v33, v6, s0
	v_mad_co_u64_u32 v[10:11], null, s19, v35, v[4:5]
	v_mov_b32_e32 v29, v7
	v_add_co_u32 v26, s0, v32, v8
	s_wait_alu 0xf1ff
	v_add_co_ci_u32_e64 v27, s0, v33, v9, s0
	s_delay_alu instid0(VALU_DEP_3) | instskip(SKIP_4) | instid1(VALU_DEP_3)
	v_lshlrev_b64_e32 v[7:8], 4, v[28:29]
	v_mov_b32_e32 v31, v10
	v_add_co_u32 v24, s0, v32, v24
	s_wait_alu 0xf1ff
	v_add_co_ci_u32_e64 v25, s0, v33, v25, s0
	v_lshlrev_b64_e32 v[9:10], 4, v[30:31]
	v_add_co_u32 v28, s0, v32, v7
	s_wait_alu 0xf1ff
	v_add_co_ci_u32_e64 v29, s0, v33, v8, s0
	s_delay_alu instid0(VALU_DEP_3)
	v_add_co_u32 v32, s0, v32, v9
	s_wait_alu 0xf1ff
	v_add_co_ci_u32_e64 v33, s0, v33, v10, s0
	s_clause 0x4
	global_load_b128 v[8:11], v[5:6], off
	global_load_b128 v[4:7], v[26:27], off
	;; [unrolled: 1-line block ×5, first 2 shown]
.LBB0_12:
	s_or_b32 exec_lo, exec_lo, s1
	s_wait_loadcnt 0x0
	v_add_f64_e64 v[39:40], v[20:21], -v[32:33]
	v_add_f64_e64 v[41:42], v[22:23], -v[34:35]
	v_add_f64_e32 v[20:21], v[32:33], v[20:21]
	v_add_f64_e32 v[32:33], v[4:5], v[8:9]
	v_add_f64_e64 v[43:44], v[10:11], -v[6:7]
	v_add_f64_e32 v[45:46], v[28:29], v[16:17]
	v_add_f64_e32 v[47:48], v[6:7], v[10:11]
	;; [unrolled: 3-line block ×3, first 2 shown]
	s_mov_b32 s5, 0x3fe491b7
	s_mov_b32 s4, 0x523c161c
	;; [unrolled: 1-line block ×4, first 2 shown]
	v_add_f64_e64 v[18:19], v[18:19], -v[30:31]
	s_mov_b32 s1, 0x3fef838b
	s_mov_b32 s11, 0x3fe8836f
	v_add_f64_e64 v[16:17], v[16:17], -v[28:29]
	v_add_f64_e32 v[71:72], v[24:25], v[12:13]
	v_add_f64_e64 v[73:74], v[14:15], -v[26:27]
	v_add_f64_e32 v[14:15], v[26:27], v[14:15]
	v_add_f64_e64 v[12:13], v[12:13], -v[24:25]
	s_mov_b32 s12, 0x42522d1b
	s_mov_b32 s13, 0xbfee11f6
	s_load_b64 s[36:37], s[2:3], 0x0
	v_mul_f64_e32 v[30:31], s[4:5], v[39:40]
	v_mul_f64_e32 v[34:35], s[4:5], v[41:42]
	s_mov_b32 s5, 0xbfe491b7
	v_fma_f64 v[53:54], v[20:21], s[10:11], v[0:1]
	v_fma_f64 v[55:56], v[32:33], s[10:11], v[0:1]
	v_mul_f64_e32 v[57:58], s[0:1], v[43:44]
	v_fma_f64 v[59:60], v[45:46], s[10:11], v[0:1]
	s_wait_alu 0xfffe
	v_mul_f64_e32 v[61:62], s[4:5], v[43:44]
	v_fma_f64 v[28:29], v[47:48], s[10:11], v[2:3]
	v_mul_f64_e32 v[63:64], s[0:1], v[49:50]
	v_fma_f64 v[65:66], v[51:52], s[10:11], v[2:3]
	;; [unrolled: 2-line block ×3, first 2 shown]
	s_mov_b32 s10, 0x7e0b738b
	s_mov_b32 s11, 0x3fc63a1a
	v_add_f64_e32 v[75:76], v[45:46], v[20:21]
	v_add_f64_e32 v[26:27], v[51:52], v[22:23]
	;; [unrolled: 1-line block ×3, first 2 shown]
	v_fma_f64 v[24:25], v[16:17], s[0:1], v[30:31]
	v_fma_f64 v[34:35], v[18:19], s[0:1], v[34:35]
	s_wait_alu 0xfffe
	v_fma_f64 v[53:54], v[45:46], s[10:11], v[53:54]
	v_fma_f64 v[55:56], v[20:21], s[10:11], v[55:56]
	v_fma_f64 v[57:58], v[18:19], s[4:5], -v[57:58]
	v_fma_f64 v[59:60], v[32:33], s[10:11], v[59:60]
	v_fma_f64 v[61:62], v[41:42], s[0:1], v[61:62]
	v_fma_f64 v[28:29], v[22:23], s[10:11], v[28:29]
	v_fma_f64 v[30:31], v[16:17], s[4:5], -v[63:64]
	v_fma_f64 v[63:64], v[47:48], s[10:11], v[65:66]
	v_fma_f64 v[65:66], v[39:40], s[0:1], v[67:68]
	v_fma_f64 v[67:68], v[51:52], s[10:11], v[69:70]
	s_mov_b32 s4, 0xe8584cab
	s_mov_b32 s5, 0x3febb67a
	;; [unrolled: 1-line block ×3, first 2 shown]
	s_wait_alu 0xfffe
	s_mov_b32 s10, s4
	v_add_f64_e32 v[69:70], v[43:44], v[41:42]
	v_add_f64_e32 v[84:85], v[32:33], v[75:76]
	;; [unrolled: 1-line block ×5, first 2 shown]
	s_mov_b32 s0, 0x748a0bf8
	s_mov_b32 s1, 0x3fd5e3a8
	v_fma_f64 v[24:25], v[12:13], s[4:5], v[24:25]
	v_fma_f64 v[34:35], v[73:74], s[4:5], v[34:35]
	v_fma_f64 v[53:54], v[71:72], -0.5, v[53:54]
	v_fma_f64 v[55:56], v[71:72], -0.5, v[55:56]
	v_fma_f64 v[57:58], v[73:74], s[4:5], v[57:58]
	v_fma_f64 v[59:60], v[71:72], -0.5, v[59:60]
	s_wait_alu 0xfffe
	v_fma_f64 v[61:62], v[73:74], s[10:11], v[61:62]
	v_fma_f64 v[28:29], v[14:15], -0.5, v[28:29]
	v_fma_f64 v[30:31], v[12:13], s[4:5], v[30:31]
	v_fma_f64 v[63:64], v[14:15], -0.5, v[63:64]
	v_add_f64_e32 v[71:72], v[49:50], v[39:40]
	v_add_f64_e32 v[73:74], v[14:15], v[2:3]
	v_fma_f64 v[12:13], v[12:13], s[10:11], v[65:66]
	v_fma_f64 v[14:15], v[14:15], -0.5, v[67:68]
	v_add_f64_e64 v[65:66], v[69:70], -v[18:19]
	v_fma_f64 v[67:68], v[84:85], -0.5, v[77:78]
	v_add_f64_e32 v[8:9], v[8:9], v[75:76]
	v_add_f64_e32 v[10:11], v[10:11], v[26:27]
	v_fma_f64 v[24:25], v[49:50], s[0:1], v[24:25]
	v_fma_f64 v[34:35], v[43:44], s[0:1], v[34:35]
	v_fma_f64 v[32:33], v[32:33], s[12:13], v[53:54]
	v_fma_f64 v[43:44], v[45:46], s[12:13], v[55:56]
	v_fma_f64 v[41:42], v[41:42], s[0:1], v[57:58]
	v_fma_f64 v[20:21], v[20:21], s[12:13], v[59:60]
	v_fma_f64 v[18:19], v[18:19], s[0:1], v[61:62]
	v_fma_f64 v[26:27], v[51:52], s[12:13], v[28:29]
	v_fma_f64 v[28:29], v[39:40], s[0:1], v[30:31]
	v_fma_f64 v[22:23], v[22:23], s[12:13], v[63:64]
	v_add_f64_e64 v[45:46], v[71:72], -v[16:17]
	v_fma_f64 v[53:54], v[86:87], -0.5, v[73:74]
	v_fma_f64 v[12:13], v[16:17], s[0:1], v[12:13]
	v_fma_f64 v[14:15], v[47:48], s[12:13], v[14:15]
	v_mul_hi_u32 v39, 0x24924925, v36
	v_cmp_gt_u32_e64 s0, 27, v94
	v_mul_f64_e32 v[16:17], s[4:5], v[65:66]
	v_add_f64_e32 v[4:5], v[4:5], v[8:9]
	v_fma_f64 v[8:9], v[65:66], s[4:5], v[67:68]
	v_add_f64_e32 v[6:7], v[6:7], v[10:11]
	v_and_b32_e32 v11, 0xff, v94
	v_sub_nc_u32_e32 v40, v36, v39
	s_delay_alu instid0(VALU_DEP_1) | instskip(NEXT) | instid1(VALU_DEP_1)
	v_lshrrev_b32_e32 v40, 1, v40
	v_add_nc_u32_e32 v47, v40, v39
	s_delay_alu instid0(VALU_DEP_1) | instskip(SKIP_2) | instid1(VALU_DEP_3)
	v_lshrrev_b32_e32 v10, 2, v47
	v_mul_lo_u16 v47, v11, 57
	v_add_f64_e32 v[30:31], v[34:35], v[32:33]
	v_mul_lo_u32 v10, v10, 7
	v_add_f64_e32 v[20:21], v[41:42], v[20:21]
	v_add_f64_e32 v[32:33], v[18:19], v[43:44]
	v_lshrrev_b16 v76, 9, v47
	v_add_f64_e64 v[22:23], v[22:23], -v[28:29]
	v_mul_f64_e32 v[39:40], s[4:5], v[45:46]
	v_fma_f64 v[43:44], v[45:46], s[10:11], v[53:54]
	v_add_f64_e64 v[26:27], v[26:27], -v[12:13]
	v_add_f64_e64 v[14:15], v[14:15], -v[24:25]
	v_and_b32_e32 v45, 0xff, v37
	v_and_b32_e32 v46, 0xff, v38
	v_sub_nc_u32_e32 v36, v36, v10
	s_mov_b32 s4, 0xe8584caa
	v_add_f64_e32 v[0:1], v[0:1], v[4:5]
	v_mul_lo_u16 v45, v45, 57
	v_mul_lo_u16 v46, v46, 57
	v_fma_f64 v[4:5], v[16:17], -2.0, v[8:9]
	v_mul_u32_u24_e32 v16, 0x129, v36
	s_wait_alu 0xfffe
	s_mov_b32 s10, s4
	v_lshrrev_b16 v77, 9, v45
	v_lshrrev_b16 v78, 9, v46
	v_lshlrev_b32_e32 v79, 3, v16
	s_delay_alu instid0(VALU_DEP_3) | instskip(NEXT) | instid1(VALU_DEP_2)
	v_mul_lo_u16 v36, v77, 9
	v_add_nc_u32_e32 v45, 0, v79
	s_delay_alu instid0(VALU_DEP_1)
	v_lshl_add_u32 v51, v94, 3, v45
	v_lshl_add_u32 v89, v37, 3, v45
	;; [unrolled: 1-line block ×3, first 2 shown]
	v_fma_f64 v[10:11], v[34:35], -2.0, v[30:31]
	v_fma_f64 v[34:35], v[41:42], -2.0, v[20:21]
	v_fma_f64 v[17:18], v[18:19], -2.0, v[32:33]
	v_mul_lo_u16 v19, v76, 9
	v_mul_lo_u16 v41, v78, 9
	v_fma_f64 v[28:29], v[28:29], 2.0, v[22:23]
	v_fma_f64 v[39:40], v[39:40], 2.0, v[43:44]
	s_delay_alu instid0(VALU_DEP_4)
	v_sub_nc_u16 v16, v94, v19
	v_sub_nc_u16 v19, v37, v36
	;; [unrolled: 1-line block ×3, first 2 shown]
	v_add_f64_e32 v[41:42], v[2:3], v[6:7]
	v_fma_f64 v[12:13], v[12:13], 2.0, v[26:27]
	v_fma_f64 v[24:25], v[24:25], 2.0, v[14:15]
	v_lshlrev_b32_e32 v2, 6, v94
	v_and_b32_e32 v87, 0xff, v19
	v_mad_u32_u24 v19, 0x48, v94, v45
	v_and_b32_e32 v86, 0xff, v16
	v_and_b32_e32 v88, 0xff, v36
	ds_store_2addr_b64 v19, v[0:1], v[30:31] offset1:1
	ds_store_2addr_b64 v19, v[32:33], v[8:9] offset0:2 offset1:3
	ds_store_b64 v19, v[10:11] offset:64
	ds_store_2addr_b64 v19, v[20:21], v[34:35] offset0:4 offset1:5
	ds_store_2addr_b64 v19, v[4:5], v[17:18] offset0:6 offset1:7
	v_sub_nc_u32_e32 v50, v19, v2
	v_lshlrev_b32_e32 v36, 5, v86
	v_lshlrev_b32_e32 v46, 5, v87
	;; [unrolled: 1-line block ×3, first 2 shown]
	global_wb scope:SCOPE_SE
	s_wait_dscnt 0x0
	v_add_nc_u32_e32 v16, 0x400, v50
	s_wait_kmcnt 0x0
	s_barrier_signal -1
	s_barrier_wait -1
	global_inv scope:SCOPE_SE
	ds_load_2addr_b64 v[0:3], v50 offset0:99 offset1:132
	ds_load_2addr_b64 v[4:7], v50 offset0:165 offset1:198
	;; [unrolled: 1-line block ×3, first 2 shown]
	ds_load_b64 v[48:49], v51
	ds_load_b64 v[64:65], v89
	;; [unrolled: 1-line block ×3, first 2 shown]
	global_wb scope:SCOPE_SE
	s_wait_dscnt 0x0
	s_barrier_signal -1
	s_barrier_wait -1
	global_inv scope:SCOPE_SE
	ds_store_2addr_b64 v19, v[41:42], v[14:15] offset1:1
	ds_store_2addr_b64 v19, v[26:27], v[43:44] offset0:2 offset1:3
	ds_store_2addr_b64 v19, v[22:23], v[28:29] offset0:4 offset1:5
	;; [unrolled: 1-line block ×3, first 2 shown]
	ds_store_b64 v19, v[24:25] offset:64
	global_wb scope:SCOPE_SE
	s_wait_dscnt 0x0
	s_barrier_signal -1
	s_barrier_wait -1
	global_inv scope:SCOPE_SE
	s_clause 0x5
	global_load_b128 v[12:15], v36, s[8:9]
	global_load_b128 v[17:20], v36, s[8:9] offset:16
	global_load_b128 v[30:33], v46, s[8:9]
	global_load_b128 v[40:43], v46, s[8:9] offset:16
	;; [unrolled: 2-line block ×3, first 2 shown]
	ds_load_2addr_b64 v[36:39], v50 offset0:99 offset1:132
	ds_load_2addr_b64 v[56:59], v50 offset0:165 offset1:198
	;; [unrolled: 1-line block ×3, first 2 shown]
	s_wait_loadcnt_dscnt 0x502
	v_mul_f64_e32 v[21:22], v[36:37], v[14:15]
	s_wait_loadcnt_dscnt 0x401
	v_mul_f64_e32 v[23:24], v[58:59], v[19:20]
	s_wait_loadcnt 0x3
	v_mul_f64_e32 v[25:26], v[38:39], v[32:33]
	s_wait_loadcnt_dscnt 0x200
	v_mul_f64_e32 v[27:28], v[60:61], v[42:43]
	s_wait_loadcnt 0x1
	v_mul_f64_e32 v[68:69], v[56:57], v[46:47]
	s_wait_loadcnt 0x0
	v_mul_f64_e32 v[70:71], v[62:63], v[54:55]
	v_mul_f64_e32 v[14:15], v[0:1], v[14:15]
	;; [unrolled: 1-line block ×7, first 2 shown]
	v_and_b32_e32 v19, 0xffff, v78
	s_delay_alu instid0(VALU_DEP_1)
	v_mad_u32_u24 v19, 0xd8, v19, 0
	v_fma_f64 v[32:33], v[0:1], v[12:13], -v[21:22]
	v_fma_f64 v[34:35], v[6:7], v[17:18], -v[23:24]
	;; [unrolled: 1-line block ×6, first 2 shown]
	v_fma_f64 v[36:37], v[36:37], v[12:13], v[14:15]
	v_fma_f64 v[22:23], v[58:59], v[17:18], v[72:73]
	;; [unrolled: 1-line block ×6, first 2 shown]
	v_lshlrev_b32_e32 v52, 3, v86
	v_lshlrev_b32_e32 v53, 3, v87
	;; [unrolled: 1-line block ×3, first 2 shown]
	v_add_f64_e32 v[6:7], v[48:49], v[32:33]
	v_add_f64_e32 v[0:1], v[32:33], v[34:35]
	;; [unrolled: 1-line block ×6, first 2 shown]
	v_add_f64_e64 v[8:9], v[36:37], -v[22:23]
	v_add_f64_e64 v[17:18], v[38:39], -v[30:31]
	;; [unrolled: 1-line block ×3, first 2 shown]
	v_add_f64_e32 v[84:85], v[6:7], v[34:35]
	v_fma_f64 v[14:15], v[0:1], -0.5, v[48:49]
	v_add_f64_e32 v[0:1], v[10:11], v[28:29]
	v_fma_f64 v[44:45], v[2:3], -0.5, v[64:65]
	v_add_f64_e32 v[6:7], v[12:13], v[26:27]
	v_fma_f64 v[48:49], v[4:5], -0.5, v[66:67]
	v_fma_f64 v[12:13], v[8:9], s[4:5], v[14:15]
	s_wait_alu 0xfffe
	v_fma_f64 v[14:15], v[8:9], s[10:11], v[14:15]
	v_fma_f64 v[2:3], v[17:18], s[4:5], v[44:45]
	;; [unrolled: 1-line block ×5, first 2 shown]
	ds_load_b64 v[48:49], v51
	ds_load_b64 v[46:47], v89
	ds_load_b64 v[44:45], v90
	v_and_b32_e32 v17, 0xffff, v76
	v_and_b32_e32 v18, 0xffff, v77
	global_wb scope:SCOPE_SE
	s_wait_dscnt 0x0
	s_barrier_signal -1
	s_barrier_wait -1
	v_mad_u32_u24 v17, 0xd8, v17, 0
	v_mad_u32_u24 v18, 0xd8, v18, 0
	global_inv scope:SCOPE_SE
	v_add3_u32 v54, v17, v52, v79
	v_add3_u32 v53, v18, v53, v79
	;; [unrolled: 1-line block ×3, first 2 shown]
                                        ; implicit-def: $vgpr18_vgpr19
	ds_store_2addr_b64 v54, v[84:85], v[12:13] offset1:9
	ds_store_b64 v54, v[14:15] offset:144
	ds_store_2addr_b64 v53, v[0:1], v[2:3] offset1:9
	ds_store_b64 v53, v[4:5] offset:144
	;; [unrolled: 2-line block ×3, first 2 shown]
	global_wb scope:SCOPE_SE
	s_wait_dscnt 0x0
	s_barrier_signal -1
	s_barrier_wait -1
	global_inv scope:SCOPE_SE
	s_and_saveexec_b32 s1, s0
	s_cbranch_execz .LBB0_14
; %bb.13:
	ds_load_b64 v[84:85], v51
	ds_load_2addr_b64 v[12:15], v50 offset0:27 offset1:54
	ds_load_2addr_b64 v[0:3], v50 offset0:81 offset1:108
	;; [unrolled: 1-line block ×5, first 2 shown]
.LBB0_14:
	s_wait_alu 0xfffe
	s_or_b32 exec_lo, exec_lo, s1
	v_add_f64_e32 v[55:56], v[36:37], v[22:23]
	v_add_f64_e32 v[57:58], v[38:39], v[30:31]
	;; [unrolled: 1-line block ×4, first 2 shown]
	v_add_f64_e64 v[32:33], v[32:33], -v[34:35]
	v_add_f64_e32 v[34:35], v[46:47], v[38:39]
	v_add_f64_e32 v[38:39], v[44:45], v[40:41]
	v_add_f64_e64 v[24:25], v[24:25], -v[28:29]
	global_wb scope:SCOPE_SE
	s_wait_dscnt 0x0
	s_barrier_signal -1
	s_barrier_wait -1
	global_inv scope:SCOPE_SE
	v_fma_f64 v[48:49], v[55:56], -0.5, v[48:49]
	v_fma_f64 v[28:29], v[57:58], -0.5, v[46:47]
	v_add_f64_e64 v[46:47], v[20:21], -v[26:27]
	v_fma_f64 v[44:45], v[59:60], -0.5, v[44:45]
	v_add_f64_e32 v[86:87], v[36:37], v[22:23]
	v_add_f64_e32 v[20:21], v[34:35], v[30:31]
	;; [unrolled: 1-line block ×3, first 2 shown]
                                        ; implicit-def: $vgpr34_vgpr35
	v_fma_f64 v[40:41], v[32:33], s[10:11], v[48:49]
	v_fma_f64 v[42:43], v[32:33], s[4:5], v[48:49]
	;; [unrolled: 1-line block ×6, first 2 shown]
	ds_store_2addr_b64 v54, v[86:87], v[40:41] offset1:9
	ds_store_b64 v54, v[42:43] offset:144
	ds_store_2addr_b64 v53, v[20:21], v[22:23] offset1:9
	ds_store_b64 v53, v[24:25] offset:144
	;; [unrolled: 2-line block ×3, first 2 shown]
	global_wb scope:SCOPE_SE
	s_wait_dscnt 0x0
	s_barrier_signal -1
	s_barrier_wait -1
	global_inv scope:SCOPE_SE
	s_and_saveexec_b32 s1, s0
	s_cbranch_execz .LBB0_16
; %bb.15:
	v_add_nc_u32_e32 v32, 0x400, v50
	ds_load_b64 v[86:87], v51
	ds_load_2addr_b64 v[40:43], v50 offset0:27 offset1:54
	ds_load_2addr_b64 v[20:23], v50 offset0:81 offset1:108
	ds_load_2addr_b64 v[24:27], v50 offset0:135 offset1:162
	ds_load_2addr_b64 v[28:31], v50 offset0:189 offset1:216
	ds_load_2addr_b64 v[32:35], v32 offset0:115 offset1:142
.LBB0_16:
	s_wait_alu 0xfffe
	s_or_b32 exec_lo, exec_lo, s1
	v_cmp_gt_u32_e64 s1, 27, v94
	s_delay_alu instid0(VALU_DEP_1)
	s_and_b32 s1, vcc_lo, s1
	s_wait_alu 0xfffe
	s_and_saveexec_b32 s2, s1
	s_cbranch_execz .LBB0_18
; %bb.17:
	v_subrev_nc_u32_e32 v36, 27, v94
	v_dual_mov_b32 v37, 0 :: v_dual_add_nc_u32 v128, 27, v94
	v_mad_co_u64_u32 v[97:98], null, s16, v94, 0
	s_delay_alu instid0(VALU_DEP_3)
	v_cndmask_b32_e64 v36, v36, v94, s0
	v_lshlrev_b64_e32 v[99:100], 4, v[80:81]
	v_mul_lo_u32 v111, s37, v82
	v_mul_lo_u32 v112, s36, v83
	v_mad_co_u64_u32 v[95:96], null, s36, v82, 0
	v_mul_i32_i24_e32 v36, 10, v36
	v_add_nc_u32_e32 v135, 0xbd, v94
	v_mad_co_u64_u32 v[113:114], null, s17, v94, v[98:99]
	v_add_nc_u32_e32 v145, 0x10e, v94
	s_delay_alu instid0(VALU_DEP_4) | instskip(NEXT) | instid1(VALU_DEP_4)
	v_lshlrev_b64_e32 v[36:37], 4, v[36:37]
	v_mad_co_u64_u32 v[82:83], null, s16, v135, 0
	v_add3_u32 v96, v96, v112, v111
	s_delay_alu instid0(VALU_DEP_4) | instskip(NEXT) | instid1(VALU_DEP_4)
	v_mad_co_u64_u32 v[111:112], null, s16, v145, 0
	v_add_co_u32 v72, vcc_lo, s8, v36
	s_wait_alu 0xfffd
	v_add_co_ci_u32_e32 v73, vcc_lo, s9, v37, vcc_lo
	v_mad_co_u64_u32 v[101:102], null, s16, v128, 0
	s_clause 0x9
	global_load_b128 v[56:59], v[72:73], off offset:288
	global_load_b128 v[36:39], v[72:73], off offset:352
	;; [unrolled: 1-line block ×10, first 2 shown]
	v_add_nc_u32_e32 v130, 54, v94
	v_add_nc_u32_e32 v131, 0x51, v94
	;; [unrolled: 1-line block ×6, first 2 shown]
	s_mov_b32 s0, 0x9bcd5057
	s_mov_b32 s2, 0xfd768dbf
	v_mad_co_u64_u32 v[92:93], null, s16, v132, 0
	s_mov_b32 s8, 0x8764f0ba
	s_mov_b32 s14, 0x7f775887
	;; [unrolled: 1-line block ×17, first 2 shown]
	s_wait_alu 0xfffe
	s_mov_b32 s4, s2
	s_mov_b32 s20, s18
	;; [unrolled: 1-line block ×11, first 2 shown]
	s_wait_loadcnt_dscnt 0x904
	v_mul_f64_e32 v[103:104], v[40:41], v[56:57]
	v_mul_f64_e32 v[105:106], v[40:41], v[58:59]
	s_wait_loadcnt_dscnt 0x700
	v_mul_f64_e32 v[116:117], v[34:35], v[44:45]
	s_wait_loadcnt 0x6
	v_mul_f64_e32 v[118:119], v[42:43], v[52:53]
	s_wait_loadcnt 0x5
	v_mul_f64_e32 v[120:121], v[32:33], v[48:49]
	v_mul_f64_e32 v[42:43], v[42:43], v[54:55]
	s_wait_loadcnt 0x4
	v_mul_f64_e32 v[122:123], v[20:21], v[68:69]
	s_wait_loadcnt 0x3
	v_mul_f64_e32 v[124:125], v[30:31], v[60:61]
	v_mul_f64_e32 v[34:35], v[34:35], v[46:47]
	;; [unrolled: 1-line block ×5, first 2 shown]
	s_wait_loadcnt 0x0
	v_mul_f64_e32 v[126:127], v[26:27], v[72:73]
	v_mul_f64_e32 v[141:142], v[26:27], v[74:75]
	;; [unrolled: 1-line block ×4, first 2 shown]
	v_fma_f64 v[58:59], v[12:13], v[58:59], v[103:104]
	v_mul_f64_e32 v[103:104], v[22:23], v[64:65]
	v_fma_f64 v[56:57], v[12:13], v[56:57], -v[105:106]
	v_dual_mov_b32 v12, v83 :: v_dual_mov_b32 v83, v112
	v_mad_co_u64_u32 v[107:108], null, s16, v130, 0
	v_add_nc_u32_e32 v133, 0x87, v94
	v_lshlrev_b64_e32 v[94:95], 4, v[95:96]
	v_mov_b32_e32 v96, v102
	v_mad_co_u64_u32 v[109:110], null, s16, v131, 0
	v_fma_f64 v[20:21], v[16:17], v[50:51], v[120:121]
	v_mov_b32_e32 v98, v108
	v_mad_co_u64_u32 v[90:91], null, s16, v133, 0
	v_mad_co_u64_u32 v[128:129], null, s17, v128, v[96:97]
	v_mov_b32_e32 v102, v110
	s_delay_alu instid0(VALU_DEP_4)
	v_mad_co_u64_u32 v[129:130], null, s17, v130, v[98:99]
	v_fma_f64 v[42:43], v[14:15], v[52:53], -v[42:43]
	v_mul_f64_e32 v[105:106], v[28:29], v[76:77]
	v_mul_f64_e32 v[28:29], v[28:29], v[78:79]
	v_fma_f64 v[50:51], v[0:1], v[70:71], v[122:123]
	v_fma_f64 v[22:23], v[10:11], v[62:63], v[124:125]
	v_fma_f64 v[16:17], v[16:17], v[48:49], -v[32:33]
	v_fma_f64 v[10:11], v[10:11], v[60:61], -v[30:31]
	;; [unrolled: 1-line block ×3, first 2 shown]
	v_mad_co_u64_u32 v[80:81], null, s16, v143, 0
	v_mov_b32_e32 v98, v113
	s_delay_alu instid0(VALU_DEP_2)
	v_mad_co_u64_u32 v[70:71], null, s17, v143, v[81:82]
	v_mad_co_u64_u32 v[130:131], null, s17, v131, v[102:103]
	v_mad_co_u64_u32 v[131:132], null, s17, v132, v[93:94]
	v_mad_co_u64_u32 v[132:133], null, s17, v133, v[91:92]
	v_add_f64_e32 v[52:53], v[86:87], v[58:59]
	v_fma_f64 v[62:63], v[2:3], v[66:67], v[103:104]
	v_fma_f64 v[66:67], v[6:7], v[74:75], v[126:127]
	v_fma_f64 v[6:7], v[6:7], v[72:73], -v[141:142]
	v_dual_mov_b32 v93, v131 :: v_dual_mov_b32 v108, v129
	v_mov_b32_e32 v81, v70
	v_mov_b32_e32 v91, v132
	v_mad_co_u64_u32 v[88:89], null, s16, v134, 0
	s_delay_alu instid0(VALU_DEP_4) | instskip(NEXT) | instid1(VALU_DEP_4)
	v_lshlrev_b64_e32 v[72:73], 4, v[92:93]
	v_lshlrev_b64_e32 v[80:81], 4, v[80:81]
	s_delay_alu instid0(VALU_DEP_3)
	v_mad_co_u64_u32 v[133:134], null, s17, v134, v[89:90]
	v_mad_co_u64_u32 v[134:135], null, s17, v135, v[12:13]
	v_fma_f64 v[12:13], v[18:19], v[46:47], v[116:117]
	v_fma_f64 v[46:47], v[14:15], v[54:55], v[118:119]
	v_add_f64_e32 v[54:55], v[84:85], v[56:57]
	v_add_co_u32 v14, vcc_lo, s6, v94
	s_wait_alu 0xfffd
	v_add_co_ci_u32_e32 v15, vcc_lo, s7, v95, vcc_lo
	v_mul_f64_e32 v[135:136], v[24:25], v[38:39]
	s_delay_alu instid0(VALU_DEP_3) | instskip(SKIP_1) | instid1(VALU_DEP_3)
	v_add_co_u32 v27, vcc_lo, v14, v99
	s_wait_alu 0xfffd
	v_add_co_ci_u32_e32 v26, vcc_lo, v15, v100, vcc_lo
	v_fma_f64 v[14:15], v[18:19], v[44:45], -v[34:35]
	v_fma_f64 v[18:19], v[0:1], v[68:69], -v[137:138]
	v_fma_f64 v[24:25], v[8:9], v[78:79], v[105:106]
	v_fma_f64 v[2:3], v[8:9], v[76:77], -v[28:29]
	v_mov_b32_e32 v89, v133
	v_mad_co_u64_u32 v[40:41], null, s16, v144, 0
	v_mad_co_u64_u32 v[78:79], null, s17, v145, v[83:84]
	v_dual_mov_b32 v102, v128 :: v_dual_mov_b32 v83, v134
	v_fma_f64 v[38:39], v[4:5], v[38:39], v[114:115]
	v_lshlrev_b64_e32 v[68:69], 4, v[107:108]
	v_mad_co_u64_u32 v[74:75], null, s17, v144, v[41:42]
	v_mov_b32_e32 v110, v130
	v_mov_b32_e32 v112, v78
	v_lshlrev_b64_e32 v[78:79], 4, v[82:83]
	v_add_f64_e64 v[48:49], v[50:51], -v[22:23]
	v_lshlrev_b64_e32 v[64:65], 4, v[101:102]
	v_lshlrev_b64_e32 v[76:77], 4, v[88:89]
	v_mov_b32_e32 v41, v74
	v_lshlrev_b64_e32 v[70:71], 4, v[109:110]
	v_lshlrev_b64_e32 v[74:75], 4, v[90:91]
	;; [unrolled: 1-line block ×3, first 2 shown]
	v_add_f64_e64 v[90:91], v[42:43], -v[16:17]
	v_add_f64_e32 v[8:9], v[58:59], v[12:13]
	v_add_f64_e32 v[32:33], v[46:47], v[20:21]
	v_add_f64_e64 v[34:35], v[46:47], -v[20:21]
	v_add_f64_e32 v[44:45], v[46:47], v[52:53]
	v_add_f64_e32 v[46:47], v[42:43], v[54:55]
	v_add_f64_e64 v[28:29], v[58:59], -v[12:13]
	v_lshlrev_b64_e32 v[82:83], 4, v[40:41]
	v_fma_f64 v[4:5], v[4:5], v[36:37], -v[135:136]
	v_add_f64_e32 v[36:37], v[50:51], v[22:23]
	v_add_f64_e32 v[42:43], v[42:43], v[16:17]
	v_lshlrev_b64_e32 v[0:1], 4, v[97:98]
	v_add_f64_e64 v[40:41], v[56:57], -v[14:15]
	v_add_f64_e64 v[92:93], v[18:19], -v[10:11]
	v_add_f64_e32 v[94:95], v[18:19], v[10:11]
	v_add_f64_e32 v[56:57], v[56:57], v[14:15]
	;; [unrolled: 1-line block ×3, first 2 shown]
	v_add_f64_e64 v[54:55], v[62:63], -v[24:25]
	v_add_f64_e64 v[96:97], v[30:31], -v[2:3]
	v_add_f64_e32 v[98:99], v[30:31], v[2:3]
	v_add_f64_e32 v[58:59], v[38:39], v[66:67]
	v_add_f64_e64 v[60:61], v[38:39], -v[66:67]
	s_wait_alu 0xfffe
	v_mul_f64_e32 v[130:131], s[10:11], v[48:49]
	v_mul_f64_e32 v[104:105], s[0:1], v[8:9]
	;; [unrolled: 1-line block ×4, first 2 shown]
	v_add_f64_e32 v[44:45], v[50:51], v[44:45]
	v_add_f64_e32 v[18:19], v[18:19], v[46:47]
	v_mul_f64_e32 v[106:107], s[4:5], v[28:29]
	v_mul_f64_e32 v[124:125], s[20:21], v[28:29]
	;; [unrolled: 1-line block ×7, first 2 shown]
	v_add_f64_e64 v[100:101], v[4:5], -v[6:7]
	v_add_f64_e32 v[102:103], v[4:5], v[6:7]
	v_mul_f64_e32 v[108:109], s[8:9], v[32:33]
	v_mul_f64_e32 v[110:111], s[12:13], v[34:35]
	;; [unrolled: 1-line block ×24, first 2 shown]
	v_fma_f64 v[176:177], v[40:41], s[2:3], v[104:105]
	v_fma_f64 v[196:197], v[40:41], s[18:19], v[120:121]
	;; [unrolled: 1-line block ×3, first 2 shown]
	v_add_f64_e32 v[44:45], v[62:63], v[44:45]
	v_add_f64_e32 v[18:19], v[30:31], v[18:19]
	v_fma_f64 v[178:179], v[56:57], s[0:1], v[106:107]
	v_fma_f64 v[198:199], v[56:57], s[14:15], v[124:125]
	;; [unrolled: 1-line block ×5, first 2 shown]
	v_fma_f64 v[106:107], v[56:57], s[0:1], -v[106:107]
	v_fma_f64 v[120:121], v[40:41], s[20:21], v[120:121]
	v_fma_f64 v[206:207], v[56:57], s[28:29], -v[160:161]
	v_fma_f64 v[124:125], v[56:57], s[14:15], -v[124:125]
	v_fma_f64 v[156:157], v[40:41], s[30:31], v[156:157]
	v_fma_f64 v[160:161], v[56:57], s[28:29], v[160:161]
	;; [unrolled: 1-line block ×7, first 2 shown]
	v_fma_f64 v[110:111], v[42:43], s[8:9], -v[110:111]
	v_fma_f64 v[40:41], v[90:91], s[34:35], v[122:123]
	v_fma_f64 v[122:123], v[90:91], s[30:31], v[122:123]
	;; [unrolled: 1-line block ×9, first 2 shown]
	v_fma_f64 v[164:165], v[42:43], s[0:1], -v[164:165]
	v_fma_f64 v[214:215], v[42:43], s[14:15], v[166:167]
	v_fma_f64 v[166:167], v[42:43], s[14:15], -v[166:167]
	v_fma_f64 v[216:217], v[42:43], s[22:23], v[34:35]
	v_fma_f64 v[34:35], v[42:43], s[22:23], -v[34:35]
	v_mul_f64_e32 v[30:31], s[26:27], v[48:49]
	v_mul_f64_e32 v[62:63], s[2:3], v[48:49]
	;; [unrolled: 1-line block ×5, first 2 shown]
	v_add_f64_e32 v[38:39], v[38:39], v[44:45]
	v_add_f64_e32 v[4:5], v[4:5], v[18:19]
	v_fma_f64 v[18:19], v[56:57], s[8:9], -v[28:29]
	v_fma_f64 v[44:45], v[56:57], s[22:23], -v[162:163]
	v_fma_f64 v[162:163], v[56:57], s[22:23], v[162:163]
	v_fma_f64 v[28:29], v[56:57], s[8:9], v[28:29]
	;; [unrolled: 1-line block ×3, first 2 shown]
	v_fma_f64 v[126:127], v[42:43], s[28:29], -v[126:127]
	v_add_f64_e32 v[42:43], v[86:87], v[176:177]
	v_add_f64_e32 v[176:177], v[84:85], v[178:179]
	;; [unrolled: 1-line block ×13, first 2 shown]
	v_fma_f64 v[184:185], v[92:93], s[18:19], v[112:113]
	v_fma_f64 v[186:187], v[94:95], s[14:15], v[46:47]
	;; [unrolled: 1-line block ×3, first 2 shown]
	v_fma_f64 v[46:47], v[94:95], s[14:15], -v[46:47]
	v_fma_f64 v[204:205], v[92:93], s[4:5], v[150:151]
	v_fma_f64 v[150:151], v[92:93], s[2:3], v[150:151]
	v_mul_f64_e32 v[136:137], s[22:23], v[58:59]
	v_mul_f64_e32 v[138:139], s[26:27], v[60:61]
	;; [unrolled: 1-line block ×7, first 2 shown]
	v_fma_f64 v[218:219], v[94:95], s[0:1], v[62:63]
	v_fma_f64 v[220:221], v[94:95], s[28:29], v[48:49]
	v_fma_f64 v[48:49], v[94:95], s[28:29], -v[48:49]
	v_fma_f64 v[62:63], v[94:95], s[0:1], -v[62:63]
	v_add_f64_e32 v[38:39], v[66:67], v[38:39]
	v_add_f64_e32 v[4:5], v[6:7], v[4:5]
	;; [unrolled: 1-line block ×9, first 2 shown]
	v_fma_f64 v[84:85], v[92:93], s[12:13], v[128:129]
	v_fma_f64 v[86:87], v[94:95], s[8:9], v[130:131]
	;; [unrolled: 1-line block ×4, first 2 shown]
	v_add_f64_e32 v[40:41], v[40:41], v[178:179]
	v_add_f64_e32 v[56:57], v[56:57], v[196:197]
	v_add_f64_e32 v[32:33], v[32:33], v[202:203]
	v_add_f64_e32 v[104:105], v[108:109], v[104:105]
	v_add_f64_e32 v[106:107], v[110:111], v[106:107]
	v_add_f64_e32 v[108:109], v[122:123], v[120:121]
	v_add_f64_e32 v[122:123], v[154:155], v[200:201]
	v_fma_f64 v[128:129], v[92:93], s[10:11], v[128:129]
	v_fma_f64 v[162:163], v[92:93], s[24:25], v[148:149]
	v_fma_f64 v[148:149], v[92:93], s[26:27], v[148:149]
	v_fma_f64 v[92:93], v[94:95], s[22:23], v[30:31]
	v_fma_f64 v[30:31], v[94:95], s[22:23], -v[30:31]
	v_add_f64_e32 v[120:121], v[152:153], v[198:199]
	v_fma_f64 v[130:131], v[94:95], s[8:9], -v[130:131]
	v_add_f64_e32 v[110:111], v[126:127], v[124:125]
	v_add_f64_e32 v[42:43], v[180:181], v[42:43]
	v_add_f64_e32 v[94:95], v[182:183], v[176:177]
	v_add_f64_e32 v[8:9], v[212:213], v[8:9]
	v_fma_f64 v[124:125], v[98:99], s[0:1], v[134:135]
	v_fma_f64 v[154:155], v[96:97], s[18:19], v[52:53]
	;; [unrolled: 1-line block ×3, first 2 shown]
	v_mul_f64_e32 v[172:173], s[20:21], v[60:61]
	v_mul_f64_e32 v[174:175], s[12:13], v[60:61]
	;; [unrolled: 1-line block ×3, first 2 shown]
	v_fma_f64 v[188:189], v[96:97], s[24:25], v[50:51]
	v_add_f64_e32 v[24:25], v[24:25], v[38:39]
	v_add_f64_e32 v[2:3], v[2:3], v[4:5]
	;; [unrolled: 1-line block ×10, first 2 shown]
	v_fma_f64 v[90:91], v[96:97], s[2:3], v[132:133]
	v_fma_f64 v[164:165], v[98:99], s[14:15], v[54:55]
	v_fma_f64 v[54:55], v[98:99], s[14:15], -v[54:55]
	v_add_f64_e32 v[40:41], v[84:85], v[40:41]
	v_add_f64_e32 v[56:57], v[86:87], v[56:57]
	;; [unrolled: 1-line block ×3, first 2 shown]
	v_fma_f64 v[190:191], v[98:99], s[22:23], v[114:115]
	v_fma_f64 v[50:51], v[96:97], s[26:27], v[50:51]
	v_fma_f64 v[114:115], v[98:99], s[22:23], -v[114:115]
	v_fma_f64 v[126:127], v[96:97], s[4:5], v[132:133]
	v_fma_f64 v[132:133], v[98:99], s[0:1], -v[134:135]
	v_fma_f64 v[134:135], v[96:97], s[12:13], v[144:145]
	v_fma_f64 v[144:145], v[96:97], s[10:11], v[144:145]
	;; [unrolled: 1-line block ×5, first 2 shown]
	v_fma_f64 v[156:157], v[98:99], s[8:9], -v[168:169]
	v_fma_f64 v[158:159], v[98:99], s[28:29], v[170:171]
	v_fma_f64 v[160:161], v[98:99], s[28:29], -v[170:171]
	v_add_f64_e32 v[98:99], v[112:113], v[104:105]
	v_add_f64_e32 v[46:47], v[46:47], v[106:107]
	v_add_f64_e32 v[106:107], v[150:151], v[122:123]
	v_add_f64_e32 v[104:105], v[148:149], v[120:121]
	v_add_f64_e32 v[84:85], v[128:129], v[108:109]
	v_add_f64_e32 v[86:87], v[130:131], v[110:111]
	v_add_f64_e32 v[42:43], v[184:185], v[42:43]
	v_add_f64_e32 v[94:95], v[186:187], v[94:95]
	v_add_f64_e32 v[8:9], v[206:207], v[8:9]
	v_add_f64_e32 v[22:23], v[22:23], v[24:25]
	v_add_f64_e32 v[2:3], v[10:11], v[2:3]
	v_add_f64_e32 v[4:5], v[48:49], v[4:5]
	v_add_f64_e32 v[6:7], v[62:63], v[6:7]
	v_add_f64_e32 v[10:11], v[30:31], v[18:19]
	v_add_f64_e32 v[18:19], v[162:163], v[34:35]
	v_add_f64_e32 v[24:25], v[92:93], v[38:39]
	v_add_f64_e32 v[30:31], v[204:205], v[44:45]
	v_add_f64_e32 v[34:35], v[218:219], v[66:67]
	v_add_f64_e32 v[28:29], v[220:221], v[28:29]
	v_fma_f64 v[36:37], v[100:101], s[24:25], v[136:137]
	v_fma_f64 v[38:39], v[102:103], s[22:23], v[138:139]
	;; [unrolled: 1-line block ×3, first 2 shown]
	v_add_f64_e32 v[40:41], v[90:91], v[40:41]
	v_add_f64_e32 v[56:57], v[124:125], v[56:57]
	;; [unrolled: 1-line block ×3, first 2 shown]
	v_fma_f64 v[58:59], v[100:101], s[4:5], v[58:59]
	v_fma_f64 v[128:129], v[102:103], s[0:1], v[60:61]
	v_fma_f64 v[60:61], v[102:103], s[0:1], -v[60:61]
	v_fma_f64 v[192:193], v[100:101], s[30:31], v[116:117]
	v_fma_f64 v[194:195], v[102:103], s[28:29], v[118:119]
	;; [unrolled: 1-line block ×3, first 2 shown]
	v_fma_f64 v[118:119], v[102:103], s[28:29], -v[118:119]
	v_fma_f64 v[44:45], v[100:101], s[26:27], v[136:137]
	v_fma_f64 v[48:49], v[102:103], s[22:23], -v[138:139]
	v_fma_f64 v[62:63], v[100:101], s[18:19], v[140:141]
	v_fma_f64 v[66:67], v[100:101], s[20:21], v[140:141]
	v_fma_f64 v[92:93], v[100:101], s[10:11], v[142:143]
	v_fma_f64 v[108:109], v[100:101], s[12:13], v[142:143]
	v_fma_f64 v[100:101], v[102:103], s[14:15], v[172:173]
	v_fma_f64 v[112:113], v[102:103], s[14:15], -v[172:173]
	v_fma_f64 v[120:121], v[102:103], s[8:9], v[174:175]
	v_fma_f64 v[122:123], v[102:103], s[8:9], -v[174:175]
	v_add_f64_e32 v[50:51], v[50:51], v[98:99]
	v_add_f64_e32 v[98:99], v[146:147], v[106:107]
	;; [unrolled: 1-line block ×22, first 2 shown]
	v_add_co_u32 v130, vcc_lo, v27, v0
	s_wait_alu 0xfffd
	v_add_co_ci_u32_e32 v131, vcc_lo, v26, v1, vcc_lo
	v_add_co_u32 v64, vcc_lo, v27, v64
	s_wait_alu 0xfffd
	v_add_co_ci_u32_e32 v65, vcc_lo, v26, v65, vcc_lo
	;; [unrolled: 3-line block ×4, first 2 shown]
	v_add_f64_e32 v[6:7], v[116:117], v[50:51]
	v_add_f64_e32 v[30:31], v[108:109], v[98:99]
	;; [unrolled: 1-line block ×19, first 2 shown]
	v_add_co_u32 v24, vcc_lo, v27, v72
	s_wait_alu 0xfffd
	v_add_co_ci_u32_e32 v25, vcc_lo, v26, v73, vcc_lo
	v_add_co_u32 v48, vcc_lo, v27, v74
	s_wait_alu 0xfffd
	v_add_co_ci_u32_e32 v49, vcc_lo, v26, v75, vcc_lo
	;; [unrolled: 3-line block ×7, first 2 shown]
	s_clause 0xa
	global_store_b128 v[130:131], v[36:39], off
	global_store_b128 v[64:65], v[32:35], off
	;; [unrolled: 1-line block ×11, first 2 shown]
.LBB0_18:
	s_nop 0
	s_sendmsg sendmsg(MSG_DEALLOC_VGPRS)
	s_endpgm
	.section	.rodata,"a",@progbits
	.p2align	6, 0x0
	.amdhsa_kernel fft_rtc_fwd_len297_factors_9_3_11_wgs_231_tpt_33_halfLds_dp_op_CI_CI_sbrr_dirReg
		.amdhsa_group_segment_fixed_size 0
		.amdhsa_private_segment_fixed_size 0
		.amdhsa_kernarg_size 104
		.amdhsa_user_sgpr_count 2
		.amdhsa_user_sgpr_dispatch_ptr 0
		.amdhsa_user_sgpr_queue_ptr 0
		.amdhsa_user_sgpr_kernarg_segment_ptr 1
		.amdhsa_user_sgpr_dispatch_id 0
		.amdhsa_user_sgpr_private_segment_size 0
		.amdhsa_wavefront_size32 1
		.amdhsa_uses_dynamic_stack 0
		.amdhsa_enable_private_segment 0
		.amdhsa_system_sgpr_workgroup_id_x 1
		.amdhsa_system_sgpr_workgroup_id_y 0
		.amdhsa_system_sgpr_workgroup_id_z 0
		.amdhsa_system_sgpr_workgroup_info 0
		.amdhsa_system_vgpr_workitem_id 0
		.amdhsa_next_free_vgpr 222
		.amdhsa_next_free_sgpr 43
		.amdhsa_reserve_vcc 1
		.amdhsa_float_round_mode_32 0
		.amdhsa_float_round_mode_16_64 0
		.amdhsa_float_denorm_mode_32 3
		.amdhsa_float_denorm_mode_16_64 3
		.amdhsa_fp16_overflow 0
		.amdhsa_workgroup_processor_mode 1
		.amdhsa_memory_ordered 1
		.amdhsa_forward_progress 0
		.amdhsa_round_robin_scheduling 0
		.amdhsa_exception_fp_ieee_invalid_op 0
		.amdhsa_exception_fp_denorm_src 0
		.amdhsa_exception_fp_ieee_div_zero 0
		.amdhsa_exception_fp_ieee_overflow 0
		.amdhsa_exception_fp_ieee_underflow 0
		.amdhsa_exception_fp_ieee_inexact 0
		.amdhsa_exception_int_div_zero 0
	.end_amdhsa_kernel
	.text
.Lfunc_end0:
	.size	fft_rtc_fwd_len297_factors_9_3_11_wgs_231_tpt_33_halfLds_dp_op_CI_CI_sbrr_dirReg, .Lfunc_end0-fft_rtc_fwd_len297_factors_9_3_11_wgs_231_tpt_33_halfLds_dp_op_CI_CI_sbrr_dirReg
                                        ; -- End function
	.section	.AMDGPU.csdata,"",@progbits
; Kernel info:
; codeLenInByte = 7628
; NumSgprs: 45
; NumVgprs: 222
; ScratchSize: 0
; MemoryBound: 1
; FloatMode: 240
; IeeeMode: 1
; LDSByteSize: 0 bytes/workgroup (compile time only)
; SGPRBlocks: 5
; VGPRBlocks: 27
; NumSGPRsForWavesPerEU: 45
; NumVGPRsForWavesPerEU: 222
; Occupancy: 6
; WaveLimiterHint : 1
; COMPUTE_PGM_RSRC2:SCRATCH_EN: 0
; COMPUTE_PGM_RSRC2:USER_SGPR: 2
; COMPUTE_PGM_RSRC2:TRAP_HANDLER: 0
; COMPUTE_PGM_RSRC2:TGID_X_EN: 1
; COMPUTE_PGM_RSRC2:TGID_Y_EN: 0
; COMPUTE_PGM_RSRC2:TGID_Z_EN: 0
; COMPUTE_PGM_RSRC2:TIDIG_COMP_CNT: 0
	.text
	.p2alignl 7, 3214868480
	.fill 96, 4, 3214868480
	.type	__hip_cuid_ddc5a012eb345bc8,@object ; @__hip_cuid_ddc5a012eb345bc8
	.section	.bss,"aw",@nobits
	.globl	__hip_cuid_ddc5a012eb345bc8
__hip_cuid_ddc5a012eb345bc8:
	.byte	0                               ; 0x0
	.size	__hip_cuid_ddc5a012eb345bc8, 1

	.ident	"AMD clang version 19.0.0git (https://github.com/RadeonOpenCompute/llvm-project roc-6.4.0 25133 c7fe45cf4b819c5991fe208aaa96edf142730f1d)"
	.section	".note.GNU-stack","",@progbits
	.addrsig
	.addrsig_sym __hip_cuid_ddc5a012eb345bc8
	.amdgpu_metadata
---
amdhsa.kernels:
  - .args:
      - .actual_access:  read_only
        .address_space:  global
        .offset:         0
        .size:           8
        .value_kind:     global_buffer
      - .offset:         8
        .size:           8
        .value_kind:     by_value
      - .actual_access:  read_only
        .address_space:  global
        .offset:         16
        .size:           8
        .value_kind:     global_buffer
      - .actual_access:  read_only
        .address_space:  global
        .offset:         24
        .size:           8
        .value_kind:     global_buffer
      - .actual_access:  read_only
        .address_space:  global
        .offset:         32
        .size:           8
        .value_kind:     global_buffer
      - .offset:         40
        .size:           8
        .value_kind:     by_value
      - .actual_access:  read_only
        .address_space:  global
        .offset:         48
        .size:           8
        .value_kind:     global_buffer
      - .actual_access:  read_only
        .address_space:  global
        .offset:         56
        .size:           8
        .value_kind:     global_buffer
      - .offset:         64
        .size:           4
        .value_kind:     by_value
      - .actual_access:  read_only
        .address_space:  global
        .offset:         72
        .size:           8
        .value_kind:     global_buffer
      - .actual_access:  read_only
        .address_space:  global
        .offset:         80
        .size:           8
        .value_kind:     global_buffer
      - .actual_access:  read_only
        .address_space:  global
        .offset:         88
        .size:           8
        .value_kind:     global_buffer
      - .actual_access:  write_only
        .address_space:  global
        .offset:         96
        .size:           8
        .value_kind:     global_buffer
    .group_segment_fixed_size: 0
    .kernarg_segment_align: 8
    .kernarg_segment_size: 104
    .language:       OpenCL C
    .language_version:
      - 2
      - 0
    .max_flat_workgroup_size: 231
    .name:           fft_rtc_fwd_len297_factors_9_3_11_wgs_231_tpt_33_halfLds_dp_op_CI_CI_sbrr_dirReg
    .private_segment_fixed_size: 0
    .sgpr_count:     45
    .sgpr_spill_count: 0
    .symbol:         fft_rtc_fwd_len297_factors_9_3_11_wgs_231_tpt_33_halfLds_dp_op_CI_CI_sbrr_dirReg.kd
    .uniform_work_group_size: 1
    .uses_dynamic_stack: false
    .vgpr_count:     222
    .vgpr_spill_count: 0
    .wavefront_size: 32
    .workgroup_processor_mode: 1
amdhsa.target:   amdgcn-amd-amdhsa--gfx1201
amdhsa.version:
  - 1
  - 2
...

	.end_amdgpu_metadata
